;; amdgpu-corpus repo=ROCm/rocFFT kind=compiled arch=gfx1030 opt=O3
	.text
	.amdgcn_target "amdgcn-amd-amdhsa--gfx1030"
	.amdhsa_code_object_version 6
	.protected	fft_rtc_back_len945_factors_3_3_3_5_7_wgs_63_tpt_63_halfLds_dp_ip_CI_unitstride_sbrr_dirReg ; -- Begin function fft_rtc_back_len945_factors_3_3_3_5_7_wgs_63_tpt_63_halfLds_dp_ip_CI_unitstride_sbrr_dirReg
	.globl	fft_rtc_back_len945_factors_3_3_3_5_7_wgs_63_tpt_63_halfLds_dp_ip_CI_unitstride_sbrr_dirReg
	.p2align	8
	.type	fft_rtc_back_len945_factors_3_3_3_5_7_wgs_63_tpt_63_halfLds_dp_ip_CI_unitstride_sbrr_dirReg,@function
fft_rtc_back_len945_factors_3_3_3_5_7_wgs_63_tpt_63_halfLds_dp_ip_CI_unitstride_sbrr_dirReg: ; @fft_rtc_back_len945_factors_3_3_3_5_7_wgs_63_tpt_63_halfLds_dp_ip_CI_unitstride_sbrr_dirReg
; %bb.0:
	s_clause 0x2
	s_load_dwordx4 s[8:11], s[4:5], 0x0
	s_load_dwordx2 s[2:3], s[4:5], 0x50
	s_load_dwordx2 s[12:13], s[4:5], 0x18
	v_mul_u32_u24_e32 v1, 0x411, v0
	v_mov_b32_e32 v3, 0
	v_add_nc_u32_sdwa v5, s6, v1 dst_sel:DWORD dst_unused:UNUSED_PAD src0_sel:DWORD src1_sel:WORD_1
	v_mov_b32_e32 v1, 0
	v_mov_b32_e32 v6, v3
	v_mov_b32_e32 v2, 0
	s_waitcnt lgkmcnt(0)
	v_cmp_lt_u64_e64 s0, s[10:11], 2
	s_and_b32 vcc_lo, exec_lo, s0
	s_cbranch_vccnz .LBB0_8
; %bb.1:
	s_load_dwordx2 s[0:1], s[4:5], 0x10
	v_mov_b32_e32 v1, 0
	s_add_u32 s6, s12, 8
	v_mov_b32_e32 v2, 0
	s_addc_u32 s7, s13, 0
	s_mov_b64 s[16:17], 1
	s_waitcnt lgkmcnt(0)
	s_add_u32 s14, s0, 8
	s_addc_u32 s15, s1, 0
.LBB0_2:                                ; =>This Inner Loop Header: Depth=1
	s_load_dwordx2 s[18:19], s[14:15], 0x0
                                        ; implicit-def: $vgpr7_vgpr8
	s_mov_b32 s0, exec_lo
	s_waitcnt lgkmcnt(0)
	v_or_b32_e32 v4, s19, v6
	v_cmpx_ne_u64_e32 0, v[3:4]
	s_xor_b32 s1, exec_lo, s0
	s_cbranch_execz .LBB0_4
; %bb.3:                                ;   in Loop: Header=BB0_2 Depth=1
	v_cvt_f32_u32_e32 v4, s18
	v_cvt_f32_u32_e32 v7, s19
	s_sub_u32 s0, 0, s18
	s_subb_u32 s20, 0, s19
	v_fmac_f32_e32 v4, 0x4f800000, v7
	v_rcp_f32_e32 v4, v4
	v_mul_f32_e32 v4, 0x5f7ffffc, v4
	v_mul_f32_e32 v7, 0x2f800000, v4
	v_trunc_f32_e32 v7, v7
	v_fmac_f32_e32 v4, 0xcf800000, v7
	v_cvt_u32_f32_e32 v7, v7
	v_cvt_u32_f32_e32 v4, v4
	v_mul_lo_u32 v8, s0, v7
	v_mul_hi_u32 v9, s0, v4
	v_mul_lo_u32 v10, s20, v4
	v_add_nc_u32_e32 v8, v9, v8
	v_mul_lo_u32 v9, s0, v4
	v_add_nc_u32_e32 v8, v8, v10
	v_mul_hi_u32 v10, v4, v9
	v_mul_lo_u32 v11, v4, v8
	v_mul_hi_u32 v12, v4, v8
	v_mul_hi_u32 v13, v7, v9
	v_mul_lo_u32 v9, v7, v9
	v_mul_hi_u32 v14, v7, v8
	v_mul_lo_u32 v8, v7, v8
	v_add_co_u32 v10, vcc_lo, v10, v11
	v_add_co_ci_u32_e32 v11, vcc_lo, 0, v12, vcc_lo
	v_add_co_u32 v9, vcc_lo, v10, v9
	v_add_co_ci_u32_e32 v9, vcc_lo, v11, v13, vcc_lo
	v_add_co_ci_u32_e32 v10, vcc_lo, 0, v14, vcc_lo
	v_add_co_u32 v8, vcc_lo, v9, v8
	v_add_co_ci_u32_e32 v9, vcc_lo, 0, v10, vcc_lo
	v_add_co_u32 v4, vcc_lo, v4, v8
	v_add_co_ci_u32_e32 v7, vcc_lo, v7, v9, vcc_lo
	v_mul_hi_u32 v8, s0, v4
	v_mul_lo_u32 v10, s20, v4
	v_mul_lo_u32 v9, s0, v7
	v_add_nc_u32_e32 v8, v8, v9
	v_mul_lo_u32 v9, s0, v4
	v_add_nc_u32_e32 v8, v8, v10
	v_mul_hi_u32 v10, v4, v9
	v_mul_lo_u32 v11, v4, v8
	v_mul_hi_u32 v12, v4, v8
	v_mul_hi_u32 v13, v7, v9
	v_mul_lo_u32 v9, v7, v9
	v_mul_hi_u32 v14, v7, v8
	v_mul_lo_u32 v8, v7, v8
	v_add_co_u32 v10, vcc_lo, v10, v11
	v_add_co_ci_u32_e32 v11, vcc_lo, 0, v12, vcc_lo
	v_add_co_u32 v9, vcc_lo, v10, v9
	v_add_co_ci_u32_e32 v9, vcc_lo, v11, v13, vcc_lo
	v_add_co_ci_u32_e32 v10, vcc_lo, 0, v14, vcc_lo
	v_add_co_u32 v8, vcc_lo, v9, v8
	v_add_co_ci_u32_e32 v9, vcc_lo, 0, v10, vcc_lo
	v_add_co_u32 v4, vcc_lo, v4, v8
	v_add_co_ci_u32_e32 v11, vcc_lo, v7, v9, vcc_lo
	v_mul_hi_u32 v13, v5, v4
	v_mad_u64_u32 v[9:10], null, v6, v4, 0
	v_mad_u64_u32 v[7:8], null, v5, v11, 0
	;; [unrolled: 1-line block ×3, first 2 shown]
	v_add_co_u32 v4, vcc_lo, v13, v7
	v_add_co_ci_u32_e32 v7, vcc_lo, 0, v8, vcc_lo
	v_add_co_u32 v4, vcc_lo, v4, v9
	v_add_co_ci_u32_e32 v4, vcc_lo, v7, v10, vcc_lo
	v_add_co_ci_u32_e32 v7, vcc_lo, 0, v12, vcc_lo
	v_add_co_u32 v4, vcc_lo, v4, v11
	v_add_co_ci_u32_e32 v9, vcc_lo, 0, v7, vcc_lo
	v_mul_lo_u32 v10, s19, v4
	v_mad_u64_u32 v[7:8], null, s18, v4, 0
	v_mul_lo_u32 v11, s18, v9
	v_sub_co_u32 v7, vcc_lo, v5, v7
	v_add3_u32 v8, v8, v11, v10
	v_sub_nc_u32_e32 v10, v6, v8
	v_subrev_co_ci_u32_e64 v10, s0, s19, v10, vcc_lo
	v_add_co_u32 v11, s0, v4, 2
	v_add_co_ci_u32_e64 v12, s0, 0, v9, s0
	v_sub_co_u32 v13, s0, v7, s18
	v_sub_co_ci_u32_e32 v8, vcc_lo, v6, v8, vcc_lo
	v_subrev_co_ci_u32_e64 v10, s0, 0, v10, s0
	v_cmp_le_u32_e32 vcc_lo, s18, v13
	v_cmp_eq_u32_e64 s0, s19, v8
	v_cndmask_b32_e64 v13, 0, -1, vcc_lo
	v_cmp_le_u32_e32 vcc_lo, s19, v10
	v_cndmask_b32_e64 v14, 0, -1, vcc_lo
	v_cmp_le_u32_e32 vcc_lo, s18, v7
	;; [unrolled: 2-line block ×3, first 2 shown]
	v_cndmask_b32_e64 v15, 0, -1, vcc_lo
	v_cmp_eq_u32_e32 vcc_lo, s19, v10
	v_cndmask_b32_e64 v7, v15, v7, s0
	v_cndmask_b32_e32 v10, v14, v13, vcc_lo
	v_add_co_u32 v13, vcc_lo, v4, 1
	v_add_co_ci_u32_e32 v14, vcc_lo, 0, v9, vcc_lo
	v_cmp_ne_u32_e32 vcc_lo, 0, v10
	v_cndmask_b32_e32 v8, v14, v12, vcc_lo
	v_cndmask_b32_e32 v10, v13, v11, vcc_lo
	v_cmp_ne_u32_e32 vcc_lo, 0, v7
	v_cndmask_b32_e32 v8, v9, v8, vcc_lo
	v_cndmask_b32_e32 v7, v4, v10, vcc_lo
.LBB0_4:                                ;   in Loop: Header=BB0_2 Depth=1
	s_andn2_saveexec_b32 s0, s1
	s_cbranch_execz .LBB0_6
; %bb.5:                                ;   in Loop: Header=BB0_2 Depth=1
	v_cvt_f32_u32_e32 v4, s18
	s_sub_i32 s1, 0, s18
	v_rcp_iflag_f32_e32 v4, v4
	v_mul_f32_e32 v4, 0x4f7ffffe, v4
	v_cvt_u32_f32_e32 v4, v4
	v_mul_lo_u32 v7, s1, v4
	v_mul_hi_u32 v7, v4, v7
	v_add_nc_u32_e32 v4, v4, v7
	v_mul_hi_u32 v4, v5, v4
	v_mul_lo_u32 v7, v4, s18
	v_add_nc_u32_e32 v8, 1, v4
	v_sub_nc_u32_e32 v7, v5, v7
	v_subrev_nc_u32_e32 v9, s18, v7
	v_cmp_le_u32_e32 vcc_lo, s18, v7
	v_cndmask_b32_e32 v7, v7, v9, vcc_lo
	v_cndmask_b32_e32 v4, v4, v8, vcc_lo
	v_cmp_le_u32_e32 vcc_lo, s18, v7
	v_add_nc_u32_e32 v8, 1, v4
	v_cndmask_b32_e32 v7, v4, v8, vcc_lo
	v_mov_b32_e32 v8, v3
.LBB0_6:                                ;   in Loop: Header=BB0_2 Depth=1
	s_or_b32 exec_lo, exec_lo, s0
	s_load_dwordx2 s[0:1], s[6:7], 0x0
	v_mul_lo_u32 v4, v8, s18
	v_mul_lo_u32 v11, v7, s19
	v_mad_u64_u32 v[9:10], null, v7, s18, 0
	s_add_u32 s16, s16, 1
	s_addc_u32 s17, s17, 0
	s_add_u32 s6, s6, 8
	s_addc_u32 s7, s7, 0
	;; [unrolled: 2-line block ×3, first 2 shown]
	v_add3_u32 v4, v10, v11, v4
	v_sub_co_u32 v5, vcc_lo, v5, v9
	v_sub_co_ci_u32_e32 v4, vcc_lo, v6, v4, vcc_lo
	s_waitcnt lgkmcnt(0)
	v_mul_lo_u32 v6, s1, v5
	v_mul_lo_u32 v4, s0, v4
	v_mad_u64_u32 v[1:2], null, s0, v5, v[1:2]
	v_cmp_ge_u64_e64 s0, s[16:17], s[10:11]
	s_and_b32 vcc_lo, exec_lo, s0
	v_add3_u32 v2, v6, v2, v4
	s_cbranch_vccnz .LBB0_9
; %bb.7:                                ;   in Loop: Header=BB0_2 Depth=1
	v_mov_b32_e32 v5, v7
	v_mov_b32_e32 v6, v8
	s_branch .LBB0_2
.LBB0_8:
	v_mov_b32_e32 v8, v6
	v_mov_b32_e32 v7, v5
.LBB0_9:
	s_lshl_b64 s[0:1], s[10:11], 3
	v_mul_hi_u32 v5, 0x4104105, v0
	s_add_u32 s0, s12, s0
	s_addc_u32 s1, s13, s1
                                        ; implicit-def: $vgpr34_vgpr35
                                        ; implicit-def: $vgpr46_vgpr47
                                        ; implicit-def: $vgpr42_vgpr43
                                        ; implicit-def: $vgpr22_vgpr23
                                        ; implicit-def: $vgpr30_vgpr31
                                        ; implicit-def: $vgpr38_vgpr39
                                        ; implicit-def: $vgpr26_vgpr27
                                        ; implicit-def: $vgpr50_vgpr51
                                        ; implicit-def: $vgpr14_vgpr15
                                        ; implicit-def: $vgpr58_vgpr59
                                        ; implicit-def: $vgpr10_vgpr11
                                        ; implicit-def: $vgpr54_vgpr55
                                        ; implicit-def: $vgpr18_vgpr19
	s_load_dwordx2 s[0:1], s[0:1], 0x0
	s_load_dwordx2 s[4:5], s[4:5], 0x20
	s_waitcnt lgkmcnt(0)
	v_mul_lo_u32 v3, s0, v8
	v_mul_lo_u32 v4, s1, v7
	v_mad_u64_u32 v[1:2], null, s0, v7, v[1:2]
	v_cmp_gt_u64_e32 vcc_lo, s[4:5], v[7:8]
                                        ; implicit-def: $vgpr6_vgpr7
	v_add3_u32 v2, v4, v2, v3
	v_mul_u32_u24_e32 v3, 63, v5
	v_lshlrev_b64 v[130:131], 4, v[1:2]
	v_sub_nc_u32_e32 v128, v0, v3
                                        ; implicit-def: $vgpr2_vgpr3
	s_and_saveexec_b32 s1, vcc_lo
	s_cbranch_execz .LBB0_11
; %bb.10:
	v_mov_b32_e32 v129, 0
	v_add_co_u32 v2, s0, s2, v130
	v_add_co_ci_u32_e64 v3, s0, s3, v131, s0
	v_lshlrev_b64 v[0:1], 4, v[128:129]
	v_add_co_u32 v20, s0, v2, v0
	v_add_co_ci_u32_e64 v21, s0, v3, v1, s0
	v_add_co_u32 v32, s0, 0x2000, v20
	v_add_co_ci_u32_e64 v33, s0, 0, v21, s0
	v_add_co_u32 v22, s0, 0x2800, v20
	v_add_co_ci_u32_e64 v23, s0, 0, v21, s0
	v_add_co_u32 v34, s0, 0x1000, v20
	v_add_co_ci_u32_e64 v35, s0, 0, v21, s0
	v_add_co_u32 v28, s0, 0x1800, v20
	v_add_co_ci_u32_e64 v29, s0, 0, v21, s0
	v_add_co_u32 v40, s0, 0x800, v20
	v_add_co_ci_u32_e64 v41, s0, 0, v21, s0
	v_add_co_u32 v60, s0, 0x3000, v20
	v_add_co_ci_u32_e64 v61, s0, 0, v21, s0
	s_clause 0xe
	global_load_dwordx4 v[16:19], v[20:21], off
	global_load_dwordx4 v[8:11], v[20:21], off offset:1008
	global_load_dwordx4 v[4:7], v[32:33], off offset:1888
	;; [unrolled: 1-line block ×14, first 2 shown]
.LBB0_11:
	s_or_b32 exec_lo, exec_lo, s1
	s_waitcnt vmcnt(10)
	v_add_f64 v[64:65], v[6:7], v[54:55]
	v_add_f64 v[60:61], v[4:5], v[52:53]
	s_waitcnt vmcnt(2)
	v_add_f64 v[72:73], v[0:1], v[56:57]
	v_add_f64 v[62:63], v[52:53], v[16:17]
	;; [unrolled: 1-line block ×8, first 2 shown]
	s_waitcnt vmcnt(0)
	v_add_f64 v[84:85], v[32:33], v[44:45]
	v_add_f64 v[82:83], v[22:23], v[30:31]
	v_add_f64 v[52:53], v[52:53], -v[4:5]
	v_add_f64 v[86:87], v[34:35], v[46:47]
	v_add_f64 v[54:55], v[54:55], -v[6:7]
	;; [unrolled: 2-line block ×3, first 2 shown]
	v_add_f64 v[56:57], v[56:57], -v[0:1]
	v_add_f64 v[88:89], v[48:49], v[12:13]
	v_add_f64 v[48:49], v[48:49], -v[24:25]
	v_add_f64 v[90:91], v[30:31], v[38:39]
	v_add_f64 v[30:31], v[30:31], -v[22:23]
	v_fma_f64 v[18:19], v[64:65], -0.5, v[18:19]
	v_fma_f64 v[16:17], v[60:61], -0.5, v[16:17]
	;; [unrolled: 1-line block ×3, first 2 shown]
	v_add_f64 v[60:61], v[50:51], v[14:15]
	v_add_f64 v[50:51], v[50:51], -v[26:27]
	v_add_f64 v[64:65], v[28:29], v[36:37]
	v_add_f64 v[72:73], v[44:45], v[40:41]
	v_fma_f64 v[10:11], v[74:75], -0.5, v[10:11]
	v_add_f64 v[74:75], v[46:47], -v[34:35]
	v_fma_f64 v[12:13], v[76:77], -0.5, v[12:13]
	v_add_f64 v[4:5], v[4:5], v[62:63]
	v_add_f64 v[62:63], v[6:7], v[66:67]
	v_fma_f64 v[6:7], v[78:79], -0.5, v[14:15]
	v_add_f64 v[66:67], v[2:3], v[70:71]
	v_fma_f64 v[2:3], v[80:81], -0.5, v[36:37]
	v_fma_f64 v[36:37], v[84:85], -0.5, v[40:41]
	;; [unrolled: 1-line block ×3, first 2 shown]
	v_add_f64 v[28:29], v[28:29], -v[20:21]
	s_mov_b32 s0, 0xe8584caa
	s_mov_b32 s1, 0xbfebb67a
	;; [unrolled: 1-line block ×4, first 2 shown]
	v_add_f64 v[44:45], v[44:45], -v[32:33]
	v_fma_f64 v[40:41], v[52:53], s[4:5], v[18:19]
	v_fma_f64 v[52:53], v[52:53], s[0:1], v[18:19]
	v_fma_f64 v[18:19], v[86:87], -0.5, v[42:43]
	v_add_f64 v[42:43], v[46:47], v[42:43]
	v_fma_f64 v[38:39], v[54:55], s[0:1], v[16:17]
	v_add_f64 v[0:1], v[0:1], v[68:69]
	v_fma_f64 v[46:47], v[58:59], s[0:1], v[8:9]
	v_fma_f64 v[16:17], v[54:55], s[4:5], v[16:17]
	;; [unrolled: 1-line block ×5, first 2 shown]
	v_add_f64 v[10:11], v[24:25], v[88:89]
	v_fma_f64 v[24:25], v[50:51], s[0:1], v[12:13]
	v_fma_f64 v[12:13], v[50:51], s[4:5], v[12:13]
	v_add_f64 v[50:51], v[26:27], v[60:61]
	v_fma_f64 v[58:59], v[48:49], s[4:5], v[6:7]
	v_fma_f64 v[48:49], v[48:49], s[0:1], v[6:7]
	;; [unrolled: 3-line block ×4, first 2 shown]
	v_mad_u32_u24 v74, v128, 24, 0
	v_add_f64 v[36:37], v[22:23], v[90:91]
	v_fma_f64 v[60:61], v[28:29], s[4:5], v[14:15]
	v_add_f64 v[68:69], v[34:35], v[42:43]
	v_fma_f64 v[70:71], v[44:45], s[4:5], v[18:19]
	v_fma_f64 v[72:73], v[44:45], s[0:1], v[18:19]
	v_add_nc_u32_e32 v35, 0xbd0, v74
	v_add_nc_u32_e32 v45, 0x17a0, v74
	v_and_b32_e32 v34, 0xff, v128
	ds_write2_b64 v74, v[4:5], v[38:39] offset1:1
	v_add_nc_u32_e32 v39, 0x11b8, v74
	v_fma_f64 v[64:65], v[28:29], s[0:1], v[14:15]
	v_add_nc_u32_e32 v94, 63, v128
	ds_write2_b64 v74, v[0:1], v[46:47] offset0:189 offset1:190
	ds_write2_b64 v74, v[16:17], v[8:9] offset0:2 offset1:191
	v_add_nc_u32_e32 v42, 0xa00, v74
	v_lshlrev_b32_e32 v0, 4, v128
	ds_write2_b64 v35, v[10:11], v[24:25] offset1:1
	ds_write2_b64 v39, v[6:7], v[20:21] offset1:1
	ds_write2_b64 v42, v[12:13], v[2:3] offset0:60 offset1:249
	ds_write2_b64 v45, v[26:27], v[30:31] offset1:1
	ds_write_b64 v74, v[32:33] offset:6064
	v_mul_lo_u16 v31, 0xab, v34
	v_sub_nc_u32_e32 v95, v74, v0
	v_and_b32_e32 v32, 0xff, v94
	v_add_nc_u32_e32 v140, 0x7e, v128
	s_waitcnt lgkmcnt(0)
	v_lshrrev_b16 v38, 9, v31
	v_add_nc_u32_e32 v30, 0x400, v95
	v_add_nc_u32_e32 v96, 0x1000, v95
	;; [unrolled: 1-line block ×3, first 2 shown]
	v_mul_lo_u16 v31, 0xab, v32
	v_add_nc_u32_e32 v98, 0x1400, v95
	v_add_nc_u32_e32 v99, 0xc00, v95
	v_mul_lo_u16 v33, v38, 3
	s_barrier
	buffer_gl0_inv
	ds_read2_b64 v[4:7], v95 offset1:63
	ds_read2_b64 v[0:3], v30 offset0:124 offset1:187
	ds_read2_b64 v[12:15], v96 offset0:118 offset1:181
	;; [unrolled: 1-line block ×6, first 2 shown]
	ds_read_b64 v[28:29], v95 offset:7056
	s_waitcnt lgkmcnt(0)
	s_barrier
	buffer_gl0_inv
	ds_write2_b64 v74, v[62:63], v[40:41] offset1:1
	ds_write2_b64 v74, v[66:67], v[54:55] offset0:189 offset1:190
	ds_write2_b64 v74, v[52:53], v[56:57] offset0:2 offset1:191
	v_lshrrev_b16 v44, 9, v31
	ds_write2_b64 v35, v[50:51], v[58:59] offset1:1
	ds_write2_b64 v39, v[36:37], v[60:61] offset1:1
	v_add_nc_u16 v36, v128, 0xbd
	v_sub_nc_u16 v43, v128, v33
	v_and_b32_e32 v33, 0xff, v140
	v_mul_lo_u16 v31, v44, 3
	ds_write2_b64 v42, v[48:49], v[64:65] offset0:60 offset1:249
	ds_write2_b64 v45, v[68:69], v[70:71] offset1:1
	v_and_b32_e32 v39, 0xff, v36
	v_add_nc_u32_e32 v45, 0xfc, v128
	v_mov_b32_e32 v37, 0xaaab
	v_mul_lo_u16 v40, 0xab, v33
	v_sub_nc_u16 v108, v94, v31
	v_mul_lo_u16 v31, 0xab, v39
	v_mov_b32_e32 v35, 5
	v_mul_u32_u24_sdwa v37, v45, v37 dst_sel:DWORD dst_unused:UNUSED_PAD src0_sel:WORD_0 src1_sel:DWORD
	v_lshrrev_b16 v86, 9, v40
	ds_write_b64 v74, v[72:73] offset:6064
	v_lshrrev_b16 v87, 9, v31
	v_lshlrev_b32_sdwa v41, v35, v43 dst_sel:DWORD dst_unused:UNUSED_PAD src0_sel:DWORD src1_sel:BYTE_0
	v_lshrrev_b32_e32 v40, 17, v37
	v_mul_lo_u16 v31, v86, 3
	v_lshlrev_b32_sdwa v37, v35, v108 dst_sel:DWORD dst_unused:UNUSED_PAD src0_sel:DWORD src1_sel:BYTE_0
	v_mul_lo_u16 v42, v87, 3
	s_waitcnt lgkmcnt(0)
	v_mul_lo_u16 v54, v40, 3
	v_sub_nc_u16 v112, v140, v31
	s_barrier
	v_sub_nc_u16 v113, v36, v42
	buffer_gl0_inv
	v_sub_nc_u16 v100, v45, v54
	v_lshlrev_b32_sdwa v31, v35, v112 dst_sel:DWORD dst_unused:UNUSED_PAD src0_sel:DWORD src1_sel:BYTE_0
	s_clause 0x3
	global_load_dwordx4 v[46:49], v41, s[8:9] offset:16
	global_load_dwordx4 v[50:53], v41, s[8:9]
	global_load_dwordx4 v[54:57], v37, s[8:9] offset:16
	global_load_dwordx4 v[58:61], v37, s[8:9]
	v_lshlrev_b32_sdwa v37, v35, v113 dst_sel:DWORD dst_unused:UNUSED_PAD src0_sel:DWORD src1_sel:BYTE_0
	v_lshlrev_b32_sdwa v41, v35, v100 dst_sel:DWORD dst_unused:UNUSED_PAD src0_sel:DWORD src1_sel:WORD_0
	s_clause 0x5
	global_load_dwordx4 v[62:65], v31, s[8:9]
	global_load_dwordx4 v[66:69], v31, s[8:9] offset:16
	global_load_dwordx4 v[70:73], v37, s[8:9] offset:16
	global_load_dwordx4 v[74:77], v37, s[8:9]
	global_load_dwordx4 v[78:81], v41, s[8:9]
	global_load_dwordx4 v[82:85], v41, s[8:9] offset:16
	v_mov_b32_e32 v37, 0xe38f
	v_mul_lo_u16 v41, v34, 57
	v_mul_lo_u16 v89, v33, 57
	;; [unrolled: 1-line block ×3, first 2 shown]
	v_mov_b32_e32 v88, 0x48
	v_mul_u32_u24_sdwa v42, v45, v37 dst_sel:DWORD dst_unused:UNUSED_PAD src0_sel:WORD_0 src1_sel:DWORD
	v_lshrrev_b16 v37, 9, v41
	v_mul_lo_u16 v41, v32, 57
	v_mov_b32_e32 v31, 3
	v_mul_u32_u24_e32 v114, 0x48, v40
	v_lshrrev_b32_e32 v42, 19, v42
	v_lshrrev_b16 v40, 9, v89
	v_lshrrev_b16 v39, 9, v41
	;; [unrolled: 1-line block ×3, first 2 shown]
	v_mul_u32_u24_sdwa v104, v38, v88 dst_sel:DWORD dst_unused:UNUSED_PAD src0_sel:WORD_0 src1_sel:DWORD
	v_mul_lo_u16 v90, v42, 9
	v_mul_lo_u16 v105, v40, 9
	v_lshlrev_b32_sdwa v106, v31, v43 dst_sel:DWORD dst_unused:UNUSED_PAD src0_sel:DWORD src1_sel:BYTE_0
	v_mul_u32_u24_sdwa v115, v44, v88 dst_sel:DWORD dst_unused:UNUSED_PAD src0_sel:WORD_0 src1_sel:DWORD
	v_mul_u32_u24_sdwa v118, v86, v88 dst_sel:DWORD dst_unused:UNUSED_PAD src0_sel:WORD_0 src1_sel:DWORD
	;; [unrolled: 1-line block ×3, first 2 shown]
	ds_read2_b64 v[86:89], v96 offset0:118 offset1:181
	v_sub_nc_u16 v45, v45, v90
	ds_read2_b64 v[90:93], v30 offset0:124 offset1:187
	v_lshlrev_b32_sdwa v120, v31, v108 dst_sel:DWORD dst_unused:UNUSED_PAD src0_sel:DWORD src1_sel:BYTE_0
	ds_read2_b64 v[108:111], v99 offset0:120 offset1:183
	ds_read_b64 v[116:117], v95 offset:7056
	v_lshlrev_b32_sdwa v119, v31, v100 dst_sel:DWORD dst_unused:UNUSED_PAD src0_sel:DWORD src1_sel:WORD_0
	ds_read2_b64 v[100:103], v97 offset0:122 offset1:185
	v_sub_nc_u16 v43, v140, v105
	v_add3_u32 v144, 0, v104, v106
	ds_read2_b64 v[104:107], v98 offset0:116 offset1:179
	v_lshlrev_b32_sdwa v112, v31, v112 dst_sel:DWORD dst_unused:UNUSED_PAD src0_sel:DWORD src1_sel:BYTE_0
	v_lshlrev_b32_sdwa v113, v31, v113 dst_sel:DWORD dst_unused:UNUSED_PAD src0_sel:DWORD src1_sel:BYTE_0
	v_add3_u32 v145, 0, v114, v119
	v_add3_u32 v147, 0, v115, v120
	v_mul_lo_u16 v38, v37, 9
	v_add3_u32 v148, 0, v118, v112
	v_add3_u32 v149, 0, v126, v113
	ds_read2_b64 v[112:115], v95 offset1:63
	v_mul_lo_u16 v44, v39, 9
	v_mul_lo_u16 v129, v41, 9
	v_sub_nc_u16 v38, v128, v38
	s_mov_b32 s13, 0x3fee6f0e
	s_mov_b32 s6, 0x4755a5e
	v_sub_nc_u16 v44, v94, v44
	v_sub_nc_u16 v36, v36, v129
	v_lshlrev_b32_sdwa v143, v35, v38 dst_sel:DWORD dst_unused:UNUSED_PAD src0_sel:DWORD src1_sel:BYTE_0
	v_lshlrev_b32_sdwa v38, v31, v38 dst_sel:DWORD dst_unused:UNUSED_PAD src0_sel:DWORD src1_sel:BYTE_0
	v_mov_b32_e32 v129, 6
	v_lshlrev_b32_sdwa v146, v35, v44 dst_sel:DWORD dst_unused:UNUSED_PAD src0_sel:DWORD src1_sel:BYTE_0
	s_mov_b32 s7, 0xbfe2cf23
	s_mov_b32 s11, 0x3fe2cf23
	s_mov_b32 s10, s6
	s_mov_b32 s14, 0x372fe950
	s_mov_b32 s15, 0x3fd3c6ef
	s_waitcnt vmcnt(9) lgkmcnt(6)
	v_mul_f64 v[118:119], v[86:87], v[48:49]
	v_mul_f64 v[48:49], v[12:13], v[48:49]
	s_waitcnt vmcnt(8) lgkmcnt(5)
	v_mul_f64 v[120:121], v[92:93], v[52:53]
	v_mul_f64 v[52:53], v[2:3], v[52:53]
	s_waitcnt vmcnt(7)
	v_mul_f64 v[122:123], v[88:89], v[56:57]
	s_waitcnt vmcnt(6) lgkmcnt(2)
	v_mul_f64 v[124:125], v[100:101], v[60:61]
	s_waitcnt vmcnt(1)
	v_mul_f64 v[138:139], v[110:111], v[80:81]
	s_waitcnt vmcnt(0)
	v_mul_f64 v[141:142], v[116:117], v[84:85]
	s_waitcnt lgkmcnt(1)
	v_mul_f64 v[134:135], v[106:107], v[72:73]
	v_mul_f64 v[136:137], v[108:109], v[76:77]
	;; [unrolled: 1-line block ×12, first 2 shown]
	v_fma_f64 v[118:119], v[12:13], v[46:47], v[118:119]
	v_fma_f64 v[46:47], v[86:87], v[46:47], -v[48:49]
	v_fma_f64 v[2:3], v[2:3], v[50:51], v[120:121]
	v_fma_f64 v[50:51], v[92:93], v[50:51], -v[52:53]
	v_fma_f64 v[48:49], v[14:15], v[54:55], v[122:123]
	v_fma_f64 v[20:21], v[20:21], v[58:59], v[124:125]
	;; [unrolled: 1-line block ×6, first 2 shown]
	v_fma_f64 v[52:53], v[88:89], v[54:55], -v[56:57]
	v_fma_f64 v[54:55], v[100:101], v[58:59], -v[60:61]
	v_fma_f64 v[22:23], v[22:23], v[62:63], v[126:127]
	v_fma_f64 v[24:25], v[24:25], v[66:67], v[132:133]
	v_fma_f64 v[56:57], v[102:103], v[62:63], -v[64:65]
	v_fma_f64 v[58:59], v[104:105], v[66:67], -v[68:69]
	;; [unrolled: 1-line block ×6, first 2 shown]
	ds_read2_b64 v[12:15], v95 offset0:126 offset1:189
	s_waitcnt lgkmcnt(0)
	s_barrier
	buffer_gl0_inv
	v_add_f64 v[70:71], v[2:3], v[118:119]
	v_add_f64 v[78:79], v[50:51], v[46:47]
	;; [unrolled: 1-line block ×6, first 2 shown]
	v_add_f64 v[72:73], v[50:51], -v[46:47]
	v_add_f64 v[86:87], v[16:17], v[26:27]
	v_add_f64 v[50:51], v[112:113], v[50:51]
	v_add_f64 v[80:81], v[54:55], v[52:53]
	v_add_f64 v[2:3], v[2:3], -v[118:119]
	v_add_f64 v[82:83], v[22:23], v[24:25]
	v_add_f64 v[116:117], v[0:1], v[18:19]
	v_add_f64 v[104:105], v[56:57], v[58:59]
	;; [unrolled: 4-line block ×3, first 2 shown]
	v_add_f64 v[120:121], v[90:91], v[64:65]
	v_add_f64 v[64:65], v[64:65], -v[66:67]
	v_add_f64 v[84:85], v[114:115], v[54:55]
	v_add_f64 v[54:55], v[54:55], -v[52:53]
	v_fma_f64 v[4:5], v[70:71], -0.5, v[4:5]
	v_fma_f64 v[70:71], v[78:79], -0.5, v[112:113]
	v_add_f64 v[102:103], v[10:11], v[16:17]
	v_add_f64 v[108:109], v[14:15], v[62:63]
	v_add_f64 v[62:63], v[62:63], -v[60:61]
	v_fma_f64 v[0:1], v[88:89], -0.5, v[0:1]
	v_fma_f64 v[6:7], v[74:75], -0.5, v[6:7]
	v_fma_f64 v[10:11], v[86:87], -0.5, v[10:11]
	v_add_f64 v[20:21], v[20:21], -v[48:49]
	v_fma_f64 v[74:75], v[80:81], -0.5, v[114:115]
	v_add_f64 v[92:93], v[8:9], v[22:23]
	v_add_f64 v[22:23], v[22:23], -v[24:25]
	v_fma_f64 v[8:9], v[82:83], -0.5, v[8:9]
	v_fma_f64 v[12:13], v[104:105], -0.5, v[12:13]
	v_add_f64 v[16:17], v[16:17], -v[26:27]
	v_fma_f64 v[14:15], v[106:107], -0.5, v[14:15]
	v_add_f64 v[18:19], v[18:19], -v[28:29]
	v_add_f64 v[48:49], v[76:77], v[48:49]
	v_fma_f64 v[76:77], v[110:111], -0.5, v[90:91]
	v_add_f64 v[68:69], v[68:69], v[118:119]
	v_add_f64 v[78:79], v[50:51], v[46:47]
	;; [unrolled: 1-line block ×3, first 2 shown]
	v_fma_f64 v[46:47], v[72:73], s[0:1], v[4:5]
	v_fma_f64 v[4:5], v[72:73], s[4:5], v[4:5]
	v_add_f64 v[80:81], v[84:85], v[52:53]
	v_add_f64 v[26:27], v[102:103], v[26:27]
	;; [unrolled: 1-line block ×3, first 2 shown]
	v_fma_f64 v[58:59], v[64:65], s[0:1], v[0:1]
	v_fma_f64 v[0:1], v[64:65], s[4:5], v[0:1]
	;; [unrolled: 1-line block ×7, first 2 shown]
	v_add_f64 v[62:63], v[120:121], v[66:67]
	v_fma_f64 v[66:67], v[2:3], s[0:1], v[70:71]
	v_fma_f64 v[70:71], v[20:21], s[4:5], v[74:75]
	;; [unrolled: 1-line block ×3, first 2 shown]
	v_add_f64 v[24:25], v[92:93], v[24:25]
	v_fma_f64 v[52:53], v[100:101], s[0:1], v[8:9]
	v_fma_f64 v[74:75], v[22:23], s[4:5], v[12:13]
	;; [unrolled: 1-line block ×6, first 2 shown]
	v_add_f64 v[28:29], v[116:117], v[28:29]
	v_fma_f64 v[84:85], v[18:19], s[4:5], v[76:77]
	v_fma_f64 v[76:77], v[18:19], s[0:1], v[76:77]
	ds_write2_b64 v144, v[68:69], v[46:47] offset1:3
	ds_write_b64 v144, v[4:5] offset:48
	ds_write2_b64 v147, v[48:49], v[50:51] offset1:3
	ds_write_b64 v147, v[6:7] offset:48
	;; [unrolled: 2-line block ×5, first 2 shown]
	s_waitcnt lgkmcnt(0)
	s_barrier
	buffer_gl0_inv
	ds_read2_b64 v[4:7], v95 offset1:63
	ds_read_b64 v[28:29], v95 offset:7056
	ds_read2_b64 v[0:3], v30 offset0:124 offset1:187
	ds_read2_b64 v[12:15], v96 offset0:118 offset1:181
	;; [unrolled: 1-line block ×6, first 2 shown]
	s_waitcnt lgkmcnt(0)
	s_barrier
	buffer_gl0_inv
	ds_write2_b64 v144, v[78:79], v[64:65] offset1:3
	ds_write_b64 v144, v[66:67] offset:48
	ds_write2_b64 v147, v[80:81], v[70:71] offset1:3
	ds_write_b64 v147, v[72:73] offset:48
	;; [unrolled: 2-line block ×5, first 2 shown]
	v_lshlrev_b32_sdwa v16, v35, v43 dst_sel:DWORD dst_unused:UNUSED_PAD src0_sel:DWORD src1_sel:BYTE_0
	v_lshlrev_b32_sdwa v17, v35, v36 dst_sel:DWORD dst_unused:UNUSED_PAD src0_sel:DWORD src1_sel:BYTE_0
	v_lshlrev_b32_sdwa v22, v35, v45 dst_sel:DWORD dst_unused:UNUSED_PAD src0_sel:DWORD src1_sel:WORD_0
	s_waitcnt lgkmcnt(0)
	s_barrier
	buffer_gl0_inv
	s_clause 0x9
	global_load_dwordx4 v[54:57], v143, s[8:9] offset:112
	global_load_dwordx4 v[58:61], v143, s[8:9] offset:96
	;; [unrolled: 1-line block ×10, first 2 shown]
	v_mul_lo_u16 v17, v32, 19
	v_mul_lo_u16 v23, v33, 19
	v_mov_b32_e32 v22, 0xd8
	v_mul_lo_u16 v16, v34, 19
	v_mul_u32_u24_e32 v112, 0xd8, v42
	v_lshrrev_b16 v27, 9, v17
	v_lshrrev_b16 v17, 9, v23
	v_mul_u32_u24_sdwa v37, v37, v22 dst_sel:DWORD dst_unused:UNUSED_PAD src0_sel:WORD_0 src1_sel:DWORD
	v_mul_u32_u24_sdwa v113, v39, v22 dst_sel:DWORD dst_unused:UNUSED_PAD src0_sel:WORD_0 src1_sel:DWORD
	;; [unrolled: 1-line block ×4, first 2 shown]
	v_mul_lo_u16 v22, v27, 27
	v_mul_lo_u16 v23, v17, 27
	ds_read2_b64 v[32:35], v96 offset0:118 offset1:181
	ds_read2_b64 v[39:42], v30 offset0:124 offset1:187
	;; [unrolled: 1-line block ×3, first 2 shown]
	v_sub_nc_u16 v25, v94, v22
	v_sub_nc_u16 v26, v140, v23
	ds_read2_b64 v[104:107], v98 offset0:116 offset1:179
	ds_read2_b64 v[108:111], v99 offset0:120 offset1:183
	ds_read_b64 v[22:23], v95 offset:7056
	v_add3_u32 v137, 0, v37, v38
	v_lshlrev_b32_sdwa v37, v31, v44 dst_sel:DWORD dst_unused:UNUSED_PAD src0_sel:DWORD src1_sel:BYTE_0
	v_lshlrev_b32_sdwa v120, v31, v36 dst_sel:DWORD dst_unused:UNUSED_PAD src0_sel:DWORD src1_sel:BYTE_0
	;; [unrolled: 1-line block ×3, first 2 shown]
	v_lshlrev_b32_sdwa v45, v31, v45 dst_sel:DWORD dst_unused:UNUSED_PAD src0_sel:DWORD src1_sel:WORD_0
	v_lshrrev_b16 v16, 9, v16
	v_add3_u32 v141, 0, v113, v37
	v_add3_u32 v143, 0, v115, v120
	;; [unrolled: 1-line block ×4, first 2 shown]
	ds_read2_b64 v[112:115], v95 offset1:63
	v_mul_lo_u16 v24, v16, 27
	v_lshlrev_b32_sdwa v139, v129, v25 dst_sel:DWORD dst_unused:UNUSED_PAD src0_sel:DWORD src1_sel:BYTE_0
	v_sub_nc_u16 v24, v128, v24
	v_lshlrev_b32_sdwa v136, v129, v24 dst_sel:DWORD dst_unused:UNUSED_PAD src0_sel:DWORD src1_sel:BYTE_0
	s_waitcnt vmcnt(5) lgkmcnt(4)
	v_mul_f64 v[120:121], v[102:103], v[72:73]
	s_waitcnt vmcnt(4) lgkmcnt(3)
	v_mul_f64 v[122:123], v[104:105], v[76:77]
	v_mul_f64 v[36:37], v[32:33], v[56:57]
	;; [unrolled: 1-line block ×7, first 2 shown]
	s_waitcnt vmcnt(3)
	v_mul_f64 v[124:125], v[106:107], v[80:81]
	s_waitcnt vmcnt(2) lgkmcnt(2)
	v_mul_f64 v[126:127], v[108:109], v[84:85]
	s_waitcnt vmcnt(1)
	v_mul_f64 v[132:133], v[110:111], v[88:89]
	s_waitcnt vmcnt(0) lgkmcnt(1)
	v_mul_f64 v[134:135], v[22:23], v[92:93]
	v_mul_f64 v[64:65], v[14:15], v[64:65]
	;; [unrolled: 1-line block ×9, first 2 shown]
	v_fma_f64 v[20:21], v[20:21], v[70:71], v[120:121]
	v_fma_f64 v[45:46], v[46:47], v[74:75], v[122:123]
	;; [unrolled: 1-line block ×3, first 2 shown]
	v_fma_f64 v[32:33], v[32:33], v[54:55], -v[43:44]
	v_fma_f64 v[2:3], v[2:3], v[58:59], v[56:57]
	v_fma_f64 v[43:44], v[14:15], v[62:63], v[116:117]
	v_fma_f64 v[41:42], v[41:42], v[58:59], -v[60:61]
	v_fma_f64 v[18:19], v[18:19], v[66:67], v[118:119]
	v_fma_f64 v[47:48], v[48:49], v[78:79], v[124:125]
	;; [unrolled: 1-line block ×5, first 2 shown]
	v_fma_f64 v[34:35], v[34:35], v[62:63], -v[64:65]
	v_fma_f64 v[54:55], v[100:101], v[66:67], -v[68:69]
	;; [unrolled: 1-line block ×8, first 2 shown]
	ds_read2_b64 v[12:15], v95 offset0:126 offset1:189
	s_waitcnt lgkmcnt(0)
	v_add_f64 v[88:89], v[8:9], v[20:21]
	v_add_f64 v[80:81], v[20:21], v[45:46]
	v_add_f64 v[20:21], v[20:21], -v[45:46]
	s_barrier
	v_add_f64 v[66:67], v[4:5], v[2:3]
	v_add_f64 v[68:69], v[2:3], v[36:37]
	;; [unrolled: 1-line block ×4, first 2 shown]
	v_add_f64 v[70:71], v[41:42], -v[32:33]
	v_add_f64 v[84:85], v[49:50], v[47:48]
	v_add_f64 v[74:75], v[6:7], v[18:19]
	v_add_f64 v[86:87], v[51:52], v[28:29]
	v_add_f64 v[41:42], v[112:113], v[41:42]
	v_add_f64 v[78:79], v[54:55], v[34:35]
	v_add_f64 v[82:83], v[114:115], v[54:55]
	v_add_f64 v[100:101], v[56:57], v[58:59]
	v_add_f64 v[53:54], v[54:55], -v[34:35]
	v_add_f64 v[102:103], v[62:63], v[60:61]
	v_add_f64 v[90:91], v[56:57], -v[58:59]
	v_add_f64 v[106:107], v[64:65], v[22:23]
	v_add_f64 v[92:93], v[10:11], v[49:50]
	;; [unrolled: 1-line block ×4, first 2 shown]
	v_add_f64 v[62:63], v[62:63], -v[60:61]
	v_add_f64 v[108:109], v[0:1], v[51:52]
	v_add_f64 v[2:3], v[2:3], -v[36:37]
	v_add_f64 v[110:111], v[39:40], v[64:65]
	v_add_f64 v[64:65], v[64:65], -v[22:23]
	v_fma_f64 v[4:5], v[68:69], -0.5, v[4:5]
	v_fma_f64 v[6:7], v[72:73], -0.5, v[6:7]
	v_add_f64 v[36:37], v[66:67], v[36:37]
	v_fma_f64 v[10:11], v[84:85], -0.5, v[10:11]
	v_fma_f64 v[66:67], v[76:77], -0.5, v[112:113]
	;; [unrolled: 1-line block ×3, first 2 shown]
	v_add_f64 v[18:19], v[18:19], -v[43:44]
	v_fma_f64 v[68:69], v[78:79], -0.5, v[114:115]
	v_fma_f64 v[8:9], v[80:81], -0.5, v[8:9]
	;; [unrolled: 1-line block ×3, first 2 shown]
	v_add_f64 v[49:50], v[49:50], -v[47:48]
	v_fma_f64 v[14:15], v[102:103], -0.5, v[14:15]
	v_add_f64 v[51:52], v[51:52], -v[28:29]
	v_fma_f64 v[38:39], v[106:107], -0.5, v[39:40]
	v_add_f64 v[43:44], v[74:75], v[43:44]
	v_add_f64 v[72:73], v[41:42], v[32:33]
	;; [unrolled: 1-line block ×8, first 2 shown]
	v_fma_f64 v[32:33], v[70:71], s[0:1], v[4:5]
	v_fma_f64 v[34:35], v[53:54], s[0:1], v[6:7]
	;; [unrolled: 1-line block ×18, first 2 shown]
	v_add_f64 v[61:62], v[110:111], v[22:23]
	v_fma_f64 v[49:50], v[51:52], s[4:5], v[38:39]
	v_fma_f64 v[51:52], v[51:52], s[0:1], v[38:39]
	buffer_gl0_inv
	ds_write2_b64 v137, v[36:37], v[32:33] offset1:9
	ds_write_b64 v137, v[4:5] offset:144
	ds_write2_b64 v141, v[43:44], v[34:35] offset1:9
	ds_write_b64 v141, v[6:7] offset:144
	;; [unrolled: 2-line block ×5, first 2 shown]
	s_waitcnt lgkmcnt(0)
	s_barrier
	buffer_gl0_inv
	ds_read2_b64 v[0:3], v95 offset1:63
	ds_read2_b64 v[4:7], v95 offset0:126 offset1:189
	ds_read_b64 v[28:29], v95 offset:7056
	ds_read2_b64 v[8:11], v97 offset0:122 offset1:185
	ds_read2_b64 v[20:23], v99 offset0:120 offset1:183
	;; [unrolled: 1-line block ×5, first 2 shown]
	s_waitcnt lgkmcnt(0)
	s_barrier
	buffer_gl0_inv
	ds_write2_b64 v137, v[72:73], v[63:64] offset1:9
	ds_write_b64 v137, v[65:66] offset:144
	ds_write2_b64 v141, v[74:75], v[70:71] offset1:9
	ds_write_b64 v141, v[18:19] offset:144
	;; [unrolled: 2-line block ×5, first 2 shown]
	s_waitcnt lgkmcnt(0)
	s_barrier
	buffer_gl0_inv
	s_clause 0x1
	global_load_dwordx4 v[44:47], v136, s[8:9] offset:400
	global_load_dwordx4 v[48:51], v139, s[8:9] offset:400
	v_lshlrev_b32_sdwa v12, v129, v26 dst_sel:DWORD dst_unused:UNUSED_PAD src0_sel:DWORD src1_sel:BYTE_0
	s_clause 0x9
	global_load_dwordx4 v[70:73], v136, s[8:9] offset:432
	global_load_dwordx4 v[74:77], v136, s[8:9] offset:416
	;; [unrolled: 1-line block ×10, first 2 shown]
	ds_read2_b64 v[120:123], v97 offset0:122 offset1:185
	ds_read2_b64 v[124:127], v98 offset0:116 offset1:179
	;; [unrolled: 1-line block ×6, first 2 shown]
	ds_read_b64 v[145:146], v95 offset:7056
	s_mov_b32 s4, 0x134454ff
	s_mov_b32 s5, 0xbfee6f0e
	;; [unrolled: 1-line block ×3, first 2 shown]
	v_cmp_gt_u32_e64 s0, 9, v128
	s_waitcnt vmcnt(9) lgkmcnt(5)
	v_mul_f64 v[54:55], v[124:125], v[72:73]
	s_waitcnt vmcnt(8) lgkmcnt(4)
	v_mul_f64 v[56:57], v[134:135], v[76:77]
	;; [unrolled: 2-line block ×3, first 2 shown]
	s_waitcnt vmcnt(6)
	v_mul_f64 v[62:63], v[126:127], v[86:87]
	s_waitcnt vmcnt(5) lgkmcnt(2)
	v_mul_f64 v[78:79], v[136:137], v[90:91]
	s_waitcnt vmcnt(4) lgkmcnt(1)
	v_mul_f64 v[92:93], v[141:142], v[102:103]
	v_mul_f64 v[18:19], v[120:121], v[46:47]
	;; [unrolled: 1-line block ×3, first 2 shown]
	s_waitcnt vmcnt(2)
	v_mul_f64 v[149:150], v[132:133], v[110:111]
	s_waitcnt vmcnt(1)
	v_mul_f64 v[151:152], v[143:144], v[114:115]
	v_mul_f64 v[147:148], v[138:139], v[106:107]
	s_waitcnt vmcnt(0) lgkmcnt(0)
	v_mul_f64 v[153:154], v[145:146], v[118:119]
	v_mul_f64 v[72:73], v[32:33], v[72:73]
	;; [unrolled: 1-line block ×11, first 2 shown]
	v_fma_f64 v[66:67], v[32:33], v[70:71], v[54:55]
	v_fma_f64 v[64:65], v[22:23], v[74:75], v[56:57]
	;; [unrolled: 1-line block ×8, first 2 shown]
	v_mul_f64 v[118:119], v[28:29], v[118:119]
	v_fma_f64 v[20:21], v[20:21], v[108:109], v[149:150]
	v_fma_f64 v[52:53], v[42:43], v[112:113], v[151:152]
	v_mul_f64 v[114:115], v[42:43], v[114:115]
	v_fma_f64 v[22:23], v[38:39], v[104:105], v[147:148]
	v_fma_f64 v[62:63], v[28:29], v[116:117], v[153:154]
	v_fma_f64 v[70:71], v[124:125], v[70:71], -v[72:73]
	v_fma_f64 v[92:93], v[14:15], v[80:81], -v[82:83]
	;; [unrolled: 1-line block ×10, first 2 shown]
	v_add_f64 v[8:9], v[68:69], v[66:67]
	v_add_f64 v[38:39], v[0:1], v[68:69]
	;; [unrolled: 1-line block ×6, first 2 shown]
	v_fma_f64 v[88:89], v[145:146], v[116:117], -v[118:119]
	v_add_f64 v[34:35], v[68:69], -v[60:61]
	v_add_f64 v[28:29], v[20:21], v[52:53]
	v_fma_f64 v[84:85], v[143:144], v[112:113], -v[114:115]
	v_add_f64 v[48:49], v[4:5], v[22:23]
	v_add_f64 v[32:33], v[22:23], v[62:63]
	v_add_f64 v[36:37], v[66:67], -v[64:65]
	v_add_f64 v[40:41], v[92:93], -v[70:71]
	;; [unrolled: 1-line block ×11, first 2 shown]
	v_add_f64 v[38:39], v[38:39], v[60:61]
	v_add_f64 v[114:115], v[20:21], -v[22:23]
	v_add_f64 v[46:47], v[46:47], v[18:19]
	v_fma_f64 v[6:7], v[6:7], -0.5, v[0:1]
	v_fma_f64 v[0:1], v[8:9], -0.5, v[0:1]
	v_add_f64 v[8:9], v[90:91], -v[72:73]
	v_fma_f64 v[10:11], v[10:11], -0.5, v[2:3]
	v_fma_f64 v[2:3], v[14:15], -0.5, v[2:3]
	v_add_f64 v[14:15], v[86:87], -v[88:89]
	v_fma_f64 v[28:29], v[28:29], -0.5, v[4:5]
	v_add_f64 v[100:101], v[80:81], -v[84:85]
	;; [unrolled: 2-line block ×3, first 2 shown]
	v_add_f64 v[48:49], v[48:49], v[20:21]
	v_add_f64 v[116:117], v[52:53], -v[62:63]
	v_add_f64 v[34:35], v[34:35], v[36:37]
	v_add_f64 v[36:37], v[102:103], v[104:105]
	;; [unrolled: 1-line block ×5, first 2 shown]
	v_fma_f64 v[118:119], v[40:41], s[4:5], v[6:7]
	v_fma_f64 v[120:121], v[42:43], s[12:13], v[0:1]
	;; [unrolled: 1-line block ×12, first 2 shown]
	v_add_f64 v[32:33], v[44:45], v[32:33]
	v_add_f64 v[44:45], v[106:107], v[108:109]
	;; [unrolled: 1-line block ×4, first 2 shown]
	v_fma_f64 v[106:107], v[42:43], s[6:7], v[118:119]
	v_fma_f64 v[108:109], v[40:41], s[6:7], v[120:121]
	v_fma_f64 v[0:1], v[40:41], s[10:11], v[0:1]
	v_fma_f64 v[6:7], v[42:43], s[10:11], v[6:7]
	v_fma_f64 v[40:41], v[50:51], s[6:7], v[122:123]
	v_fma_f64 v[42:43], v[8:9], s[6:7], v[124:125]
	v_fma_f64 v[2:3], v[8:9], s[10:11], v[2:3]
	v_fma_f64 v[8:9], v[50:51], s[10:11], v[10:11]
	v_fma_f64 v[10:11], v[100:101], s[6:7], v[126:127]
	v_fma_f64 v[50:51], v[14:15], s[6:7], v[132:133]
	v_fma_f64 v[4:5], v[14:15], s[10:11], v[4:5]
	v_fma_f64 v[14:15], v[100:101], s[10:11], v[28:29]
	v_mov_b32_e32 v100, 0x438
	v_add_f64 v[29:30], v[46:47], v[56:57]
                                        ; implicit-def: $vgpr132_vgpr133
	v_mul_u32_u24_sdwa v101, v27, v100 dst_sel:DWORD dst_unused:UNUSED_PAD src0_sel:WORD_0 src1_sel:DWORD
	v_add_f64 v[27:28], v[38:39], v[66:67]
	v_add_f64 v[38:39], v[48:49], v[62:63]
	v_mul_u32_u24_sdwa v16, v16, v100 dst_sel:DWORD dst_unused:UNUSED_PAD src0_sel:WORD_0 src1_sel:DWORD
	v_fma_f64 v[46:47], v[34:35], s[14:15], v[106:107]
	v_fma_f64 v[48:49], v[32:33], s[14:15], v[108:109]
	;; [unrolled: 1-line block ×12, first 2 shown]
	v_lshlrev_b32_sdwa v15, v31, v24 dst_sel:DWORD dst_unused:UNUSED_PAD src0_sel:DWORD src1_sel:BYTE_0
	v_mul_u32_u24_sdwa v14, v17, v100 dst_sel:DWORD dst_unused:UNUSED_PAD src0_sel:WORD_0 src1_sel:DWORD
	v_lshlrev_b32_sdwa v17, v31, v25 dst_sel:DWORD dst_unused:UNUSED_PAD src0_sel:DWORD src1_sel:BYTE_0
	v_lshlrev_b32_sdwa v24, v31, v26 dst_sel:DWORD dst_unused:UNUSED_PAD src0_sel:DWORD src1_sel:BYTE_0
	v_add_nc_u32_e32 v100, 0x1800, v95
	v_add3_u32 v103, 0, v16, v15
	v_add3_u32 v102, 0, v101, v17
	;; [unrolled: 1-line block ×3, first 2 shown]
	ds_read2_b64 v[14:17], v95 offset1:63
	s_waitcnt lgkmcnt(0)
	s_barrier
	buffer_gl0_inv
	ds_write2_b64 v103, v[27:28], v[46:47] offset1:27
	ds_write2_b64 v103, v[48:49], v[32:33] offset0:54 offset1:81
	ds_write_b64 v103, v[6:7] offset:864
	ds_write2_b64 v102, v[29:30], v[34:35] offset1:27
	ds_write2_b64 v102, v[40:41], v[2:3] offset0:54 offset1:81
	ds_write_b64 v102, v[8:9] offset:864
	;; [unrolled: 3-line block ×3, first 2 shown]
	s_waitcnt lgkmcnt(0)
	s_barrier
	buffer_gl0_inv
	ds_read2_b64 v[24:27], v95 offset1:63
	ds_read2_b64 v[28:31], v95 offset0:135 offset1:198
	ds_read2_b64 v[40:43], v97 offset0:14 offset1:77
	;; [unrolled: 1-line block ×6, first 2 shown]
                                        ; implicit-def: $vgpr6_vgpr7
                                        ; implicit-def: $vgpr10_vgpr11
	s_and_saveexec_b32 s1, s0
	s_cbranch_execz .LBB0_13
; %bb.12:
	v_add_nc_u32_e32 v0, 0x200, v95
	ds_read2_b64 v[8:11], v99 offset0:12 offset1:147
	ds_read2_b64 v[4:7], v98 offset0:26 offset1:161
	;; [unrolled: 1-line block ×3, first 2 shown]
	ds_read_b64 v[132:133], v95 offset:7488
.LBB0_13:
	s_or_b32 exec_lo, exec_lo, s1
	v_add_f64 v[98:99], v[76:77], v[74:75]
	v_add_f64 v[104:105], v[92:93], v[70:71]
	;; [unrolled: 1-line block ×7, first 2 shown]
	v_add_f64 v[66:67], v[68:69], -v[66:67]
	v_add_f64 v[116:117], v[16:17], v[90:91]
	v_add_f64 v[118:119], v[12:13], v[86:87]
	v_add_f64 v[60:61], v[60:61], -v[64:65]
	v_add_f64 v[56:57], v[58:59], -v[56:57]
	;; [unrolled: 1-line block ×11, first 2 shown]
	s_waitcnt lgkmcnt(0)
	v_fma_f64 v[98:99], v[98:99], -0.5, v[14:15]
	v_fma_f64 v[14:15], v[104:105], -0.5, v[14:15]
	;; [unrolled: 1-line block ×6, first 2 shown]
	v_add_f64 v[108:109], v[86:87], -v[80:81]
	v_add_f64 v[86:87], v[80:81], -v[86:87]
	v_add_f64 v[76:77], v[114:115], v[76:77]
	v_add_f64 v[78:79], v[116:117], v[78:79]
	v_add_f64 v[80:81], v[118:119], v[80:81]
	v_add_f64 v[104:105], v[72:73], -v[82:83]
	v_add_f64 v[106:107], v[82:83], -v[72:73]
	;; [unrolled: 1-line block ×4, first 2 shown]
	s_barrier
	v_add_f64 v[64:65], v[64:65], v[68:69]
	buffer_gl0_inv
                                        ; implicit-def: $vgpr134_vgpr135
	v_add_f64 v[58:59], v[92:93], v[58:59]
	v_fma_f64 v[114:115], v[66:67], s[12:13], v[98:99]
	v_fma_f64 v[98:99], v[66:67], s[4:5], v[98:99]
	;; [unrolled: 1-line block ×12, first 2 shown]
	v_add_f64 v[74:75], v[76:77], v[74:75]
	v_add_f64 v[76:77], v[78:79], v[82:83]
	;; [unrolled: 1-line block ×7, first 2 shown]
	v_fma_f64 v[80:81], v[60:61], s[10:11], v[114:115]
	v_fma_f64 v[60:61], v[60:61], s[6:7], v[98:99]
	;; [unrolled: 1-line block ×12, first 2 shown]
	v_add_f64 v[22:23], v[74:75], v[70:71]
	v_add_f64 v[52:53], v[76:77], v[72:73]
	;; [unrolled: 1-line block ×3, first 2 shown]
	v_fma_f64 v[72:73], v[64:65], s[14:15], v[80:81]
	v_fma_f64 v[60:61], v[64:65], s[14:15], v[60:61]
	;; [unrolled: 1-line block ×12, first 2 shown]
	ds_write2_b64 v103, v[22:23], v[72:73] offset1:27
	ds_write2_b64 v103, v[64:65], v[14:15] offset0:54 offset1:81
	ds_write_b64 v103, v[60:61] offset:864
	ds_write2_b64 v102, v[52:53], v[58:59] offset1:27
	ds_write2_b64 v102, v[54:55], v[16:17] offset0:54 offset1:81
	ds_write_b64 v102, v[18:19] offset:864
	;; [unrolled: 3-line block ×3, first 2 shown]
	s_waitcnt lgkmcnt(0)
	s_barrier
	buffer_gl0_inv
	ds_read2_b64 v[52:55], v95 offset1:63
	ds_read2_b64 v[56:59], v95 offset0:135 offset1:198
	ds_read2_b64 v[76:79], v97 offset0:14 offset1:77
	;; [unrolled: 1-line block ×6, first 2 shown]
                                        ; implicit-def: $vgpr18_vgpr19
                                        ; implicit-def: $vgpr22_vgpr23
	s_and_saveexec_b32 s1, s0
	s_cbranch_execz .LBB0_15
; %bb.14:
	v_add_nc_u32_e32 v12, 0x200, v95
	v_add_nc_u32_e32 v16, 0xc00, v95
	;; [unrolled: 1-line block ×3, first 2 shown]
	ds_read2_b64 v[12:15], v12 offset0:62 offset1:197
	ds_read2_b64 v[20:23], v16 offset0:12 offset1:147
	;; [unrolled: 1-line block ×3, first 2 shown]
	ds_read_b64 v[134:135], v95 offset:7488
.LBB0_15:
	s_or_b32 exec_lo, exec_lo, s1
	s_and_saveexec_b32 s1, vcc_lo
	s_cbranch_execz .LBB0_18
; %bb.16:
	v_mul_u32_u24_e32 v80, 6, v94
	s_mov_b32 s22, 0xe976ee23
	s_mov_b32 s24, 0x37e14327
	;; [unrolled: 1-line block ×4, first 2 shown]
	v_lshlrev_b32_e32 v80, 4, v80
	s_mov_b32 s20, 0x36b3c0b5
	s_mov_b32 s25, 0x3fe948f6
	;; [unrolled: 1-line block ×4, first 2 shown]
	v_add_co_u32 v98, s1, s8, v80
	v_mul_u32_u24_e32 v80, 6, v128
	v_add_co_ci_u32_e64 v99, null, s9, 0, s1
	v_add_co_u32 v96, vcc_lo, 0x800, v98
	v_lshlrev_b32_e32 v100, 4, v80
	v_add_co_ci_u32_e32 v97, vcc_lo, 0, v99, vcc_lo
	v_add_co_u32 v88, vcc_lo, 0x840, v98
	v_add_co_u32 v118, s1, s8, v100
	v_add_co_ci_u32_e32 v89, vcc_lo, 0, v99, vcc_lo
	v_add_co_u32 v98, vcc_lo, 0x880, v98
	v_add_co_ci_u32_e64 v119, null, s9, 0, s1
	v_add_co_ci_u32_e32 v99, vcc_lo, 0, v99, vcc_lo
	v_add_co_u32 v112, vcc_lo, 0x840, v118
	v_add_co_ci_u32_e32 v113, vcc_lo, 0, v119, vcc_lo
	v_add_co_u32 v116, vcc_lo, 0x800, v118
	;; [unrolled: 2-line block ×3, first 2 shown]
	v_add_co_ci_u32_e32 v125, vcc_lo, 0, v119, vcc_lo
	s_clause 0xb
	global_load_dwordx4 v[80:83], v[96:97], off offset:64
	global_load_dwordx4 v[84:87], v[88:89], off offset:48
	;; [unrolled: 1-line block ×12, first 2 shown]
	s_mov_b32 s14, 0xb247c609
	s_mov_b32 s6, 0xaaaaaaaa
	;; [unrolled: 1-line block ×12, first 2 shown]
	v_mov_b32_e32 v129, 0
	v_add_co_u32 v130, vcc_lo, s2, v130
	v_add_co_ci_u32_e32 v131, vcc_lo, s3, v131, vcc_lo
	v_lshlrev_b64 v[136:137], 4, v[128:129]
	v_add_co_u32 v130, vcc_lo, v130, v136
	v_add_co_ci_u32_e32 v131, vcc_lo, v131, v137, vcc_lo
	v_add_co_u32 v138, vcc_lo, 0x800, v130
	v_add_co_ci_u32_e32 v139, vcc_lo, 0, v131, vcc_lo
	;; [unrolled: 2-line block ×3, first 2 shown]
	s_waitcnt vmcnt(11)
	v_mul_f64 v[149:150], v[30:31], v[80:81]
	s_waitcnt vmcnt(10)
	v_mul_f64 v[141:142], v[34:35], v[84:85]
	;; [unrolled: 2-line block ×6, first 2 shown]
	v_mul_f64 v[50:51], v[50:51], v[94:95]
	v_mul_f64 v[34:35], v[34:35], v[86:87]
	;; [unrolled: 1-line block ×6, first 2 shown]
	s_waitcnt vmcnt(3)
	v_mul_f64 v[157:158], v[40:41], v[112:113]
	s_waitcnt vmcnt(2)
	v_mul_f64 v[159:160], v[44:45], v[120:121]
	v_mul_f64 v[40:41], v[40:41], v[114:115]
	;; [unrolled: 1-line block ×3, first 2 shown]
	s_waitcnt vmcnt(1)
	v_mul_f64 v[161:162], v[28:29], v[118:119]
	s_waitcnt vmcnt(0)
	v_mul_f64 v[163:164], v[36:37], v[126:127]
	v_mul_f64 v[28:29], v[28:29], v[116:117]
	;; [unrolled: 1-line block ×7, first 2 shown]
	s_waitcnt lgkmcnt(2)
	v_fma_f64 v[86:87], v[66:67], v[86:87], v[141:142]
	v_fma_f64 v[94:95], v[62:63], v[94:95], v[143:144]
	v_fma_f64 v[90:91], v[78:79], v[90:91], v[145:146]
	s_waitcnt lgkmcnt(1)
	v_fma_f64 v[102:103], v[74:75], v[102:103], v[147:148]
	s_waitcnt lgkmcnt(0)
	v_fma_f64 v[98:99], v[70:71], v[98:99], v[151:152]
	v_fma_f64 v[50:51], v[62:63], v[92:93], -v[50:51]
	v_fma_f64 v[34:35], v[66:67], v[84:85], -v[34:35]
	;; [unrolled: 1-line block ×6, first 2 shown]
	v_fma_f64 v[66:67], v[76:77], v[114:115], v[157:158]
	v_fma_f64 v[40:41], v[76:77], v[112:113], -v[40:41]
	v_fma_f64 v[44:45], v[72:73], v[120:121], -v[44:45]
	;; [unrolled: 1-line block ×4, first 2 shown]
	v_fma_f64 v[72:73], v[72:73], v[122:123], v[159:160]
	v_fma_f64 v[56:57], v[56:57], v[118:119], v[28:29]
	;; [unrolled: 1-line block ×6, first 2 shown]
	v_fma_f64 v[48:49], v[60:61], v[108:109], -v[48:49]
	v_fma_f64 v[32:33], v[64:65], v[104:105], -v[32:33]
	v_add_f64 v[60:61], v[86:87], -v[94:95]
	v_add_f64 v[64:65], v[90:91], -v[102:103]
	v_add_f64 v[84:85], v[86:87], v[94:95]
	v_add_f64 v[86:87], v[90:91], v[102:103]
	;; [unrolled: 1-line block ×3, first 2 shown]
	v_add_f64 v[34:35], v[34:35], -v[50:51]
	v_add_f64 v[78:79], v[42:43], v[46:47]
	v_add_f64 v[42:43], v[42:43], -v[46:47]
	v_add_f64 v[80:81], v[30:31], v[38:39]
	v_add_f64 v[30:31], v[30:31], -v[38:39]
	v_add_co_u32 v28, vcc_lo, 0x1800, v130
	v_add_f64 v[46:47], v[40:41], v[44:45]
	v_add_f64 v[50:51], v[70:71], v[74:75]
	v_add_f64 v[88:89], v[66:67], -v[72:73]
	v_add_f64 v[66:67], v[66:67], v[72:73]
	v_add_f64 v[90:91], v[56:57], -v[36:37]
	;; [unrolled: 2-line block ×4, first 2 shown]
	v_add_f64 v[56:57], v[32:33], v[48:49]
	v_add_f64 v[58:59], v[58:59], v[62:63]
	v_add_f64 v[32:33], v[32:33], -v[48:49]
	v_add_f64 v[40:41], v[40:41], -v[44:45]
	;; [unrolled: 1-line block ×3, first 2 shown]
	v_add_f64 v[48:49], v[60:61], v[64:65]
	v_add_f64 v[62:63], v[60:61], -v[64:65]
	v_add_f64 v[70:71], v[76:77], -v[78:79]
	v_add_f64 v[98:99], v[34:35], v[42:43]
	v_add_f64 v[72:73], v[78:79], v[80:81]
	v_add_f64 v[102:103], v[34:35], -v[42:43]
	v_add_f64 v[104:105], v[30:31], -v[34:35]
	;; [unrolled: 1-line block ×4, first 2 shown]
	v_add_f64 v[100:101], v[46:47], v[50:51]
	v_add_f64 v[78:79], v[78:79], -v[80:81]
	v_add_f64 v[42:43], v[42:43], -v[30:31]
	v_add_co_ci_u32_e32 v29, vcc_lo, 0, v131, vcc_lo
	v_add_f64 v[34:35], v[66:67], v[36:37]
	v_add_f64 v[96:97], v[86:87], v[82:83]
	v_add_f64 v[94:95], v[82:83], -v[84:85]
	v_add_f64 v[64:65], v[64:65], -v[68:69]
	;; [unrolled: 1-line block ×3, first 2 shown]
	v_add_f64 v[82:83], v[38:39], v[88:89]
	v_add_f64 v[86:87], v[38:39], -v[88:89]
	v_add_f64 v[106:107], v[90:91], -v[38:39]
	;; [unrolled: 1-line block ×6, first 2 shown]
	v_add_f64 v[114:115], v[32:33], v[40:41]
	v_add_f64 v[116:117], v[32:33], -v[40:41]
	v_add_f64 v[72:73], v[76:77], v[72:73]
	v_add_f64 v[40:41], v[40:41], -v[44:45]
	v_add_f64 v[88:89], v[88:89], -v[90:91]
	v_add_f64 v[56:57], v[56:57], v[100:101]
	v_add_f64 v[60:61], v[68:69], -v[60:61]
	v_add_f64 v[76:77], v[44:45], -v[32:33]
	;; [unrolled: 1-line block ×4, first 2 shown]
	v_add_f64 v[58:59], v[58:59], v[34:35]
	v_add_f64 v[84:85], v[84:85], v[96:97]
	;; [unrolled: 1-line block ×3, first 2 shown]
	v_mul_f64 v[62:63], v[62:63], s[22:23]
	v_mul_f64 v[68:69], v[74:75], s[24:25]
	v_mul_f64 v[74:75], v[94:95], s[24:25]
	v_mul_f64 v[96:97], v[64:65], s[18:19]
	v_add_f64 v[30:31], v[98:99], v[30:31]
	v_mul_f64 v[98:99], v[42:43], s[18:19]
	v_mul_f64 v[86:87], v[86:87], s[22:23]
	;; [unrolled: 1-line block ×6, first 2 shown]
	v_add_f64 v[34:35], v[54:55], v[72:73]
	v_mul_f64 v[54:55], v[38:39], s[24:25]
	v_mul_f64 v[120:121], v[40:41], s[18:19]
	v_add_f64 v[38:39], v[52:53], v[56:57]
	v_add_f64 v[82:83], v[82:83], v[90:91]
	v_mul_f64 v[90:91], v[108:109], s[20:21]
	v_mul_f64 v[102:103], v[88:89], s[18:19]
	;; [unrolled: 1-line block ×3, first 2 shown]
	v_add_f64 v[36:37], v[24:25], v[58:59]
	v_add_f64 v[32:33], v[26:27], v[84:85]
	v_mul_f64 v[100:101], v[92:93], s[20:21]
	v_add_f64 v[44:45], v[114:115], v[44:45]
	v_fma_f64 v[52:53], v[60:61], s[14:15], v[62:63]
	v_fma_f64 v[24:25], v[92:93], s[20:21], v[74:75]
	v_fma_f64 v[60:61], v[60:61], s[16:17], -v[96:97]
	v_fma_f64 v[62:63], v[64:65], s[18:19], -v[62:63]
	v_fma_f64 v[92:93], v[104:105], s[16:17], -v[98:99]
	v_fma_f64 v[64:65], v[106:107], s[14:15], v[86:87]
	v_fma_f64 v[86:87], v[88:89], s[18:19], -v[86:87]
	v_fma_f64 v[98:99], v[110:111], s[20:21], v[112:113]
	v_fma_f64 v[70:71], v[70:71], s[20:21], v[68:69]
	;; [unrolled: 1-line block ×3, first 2 shown]
	v_fma_f64 v[40:41], v[40:41], s[18:19], -v[116:117]
	v_fma_f64 v[96:97], v[108:109], s[20:21], v[54:55]
	v_fma_f64 v[76:77], v[76:77], s[16:17], -v[120:121]
	v_fma_f64 v[56:57], v[56:57], s[6:7], v[38:39]
	v_fma_f64 v[68:69], v[78:79], s[12:13], -v[68:69]
	v_fma_f64 v[66:67], v[78:79], s[10:11], -v[66:67]
	;; [unrolled: 1-line block ×3, first 2 shown]
	v_fma_f64 v[72:73], v[72:73], s[6:7], v[34:35]
	v_fma_f64 v[58:59], v[58:59], s[6:7], v[36:37]
	v_fma_f64 v[54:55], v[46:47], s[12:13], -v[54:55]
	v_fma_f64 v[46:47], v[46:47], s[10:11], -v[90:91]
	v_fma_f64 v[90:91], v[50:51], s[12:13], -v[112:113]
	v_fma_f64 v[50:51], v[50:51], s[10:11], -v[118:119]
	v_fma_f64 v[26:27], v[104:105], s[14:15], v[94:95]
	v_fma_f64 v[84:85], v[84:85], s[6:7], v[32:33]
	v_fma_f64 v[74:75], v[80:81], s[12:13], -v[74:75]
	v_fma_f64 v[42:43], v[42:43], s[18:19], -v[94:95]
	;; [unrolled: 1-line block ×3, first 2 shown]
	v_fma_f64 v[64:65], v[82:83], s[4:5], v[64:65]
	v_fma_f64 v[52:53], v[48:49], s[4:5], v[52:53]
	;; [unrolled: 1-line block ×7, first 2 shown]
	v_add_f64 v[76:77], v[96:97], v[56:57]
	v_fma_f64 v[44:45], v[30:31], s[4:5], v[92:93]
	v_fma_f64 v[94:95], v[82:83], s[4:5], v[78:79]
	v_add_f64 v[62:63], v[70:71], v[72:73]
	v_add_f64 v[92:93], v[98:99], v[58:59]
	;; [unrolled: 1-line block ×4, first 2 shown]
	v_fma_f64 v[72:73], v[82:83], s[4:5], v[86:87]
	v_add_f64 v[82:83], v[54:55], v[56:57]
	v_add_f64 v[90:91], v[90:91], v[58:59]
	;; [unrolled: 1-line block ×4, first 2 shown]
	v_fma_f64 v[26:27], v[30:31], s[4:5], v[26:27]
	v_add_f64 v[98:99], v[24:25], v[84:85]
	v_add_f64 v[102:103], v[74:75], v[84:85]
	v_fma_f64 v[30:31], v[30:31], s[4:5], v[42:43]
	v_add_f64 v[104:105], v[80:81], v[84:85]
	v_add_co_u32 v24, vcc_lo, 0x2000, v130
	v_add_co_ci_u32_e32 v25, vcc_lo, 0, v131, vcc_lo
	v_add_f64 v[86:87], v[76:77], -v[64:65]
	v_add_f64 v[42:43], v[52:53], v[62:63]
	v_add_f64 v[84:85], v[88:89], v[92:93]
	;; [unrolled: 1-line block ×3, first 2 shown]
	v_add_f64 v[50:51], v[66:67], -v[48:49]
	v_add_f64 v[54:55], v[48:49], v[66:67]
	v_add_f64 v[70:71], v[94:95], v[82:83]
	v_add_f64 v[82:83], v[82:83], -v[94:95]
	v_add_f64 v[80:81], v[100:101], v[90:91]
	v_add_f64 v[66:67], v[64:65], v[76:77]
	v_add_f64 v[78:79], v[72:73], v[56:57]
	v_add_f64 v[76:77], v[96:97], -v[40:41]
	v_add_f64 v[74:75], v[56:57], -v[72:73]
	v_add_f64 v[72:73], v[40:41], v[96:97]
	v_add_f64 v[58:59], v[68:69], -v[60:61]
	v_add_f64 v[68:69], v[90:91], -v[100:101]
	;; [unrolled: 1-line block ×4, first 2 shown]
	v_add_f64 v[60:61], v[26:27], v[98:99]
	v_add_f64 v[56:57], v[44:45], v[102:103]
	v_add_f64 v[52:53], v[104:105], -v[30:31]
	v_add_f64 v[48:49], v[30:31], v[104:105]
	v_add_f64 v[44:45], v[102:103], -v[44:45]
	v_add_f64 v[40:41], v[98:99], -v[26:27]
	v_add_co_u32 v26, vcc_lo, 0x2800, v130
	v_add_co_ci_u32_e32 v27, vcc_lo, 0, v131, vcc_lo
	v_add_co_u32 v30, vcc_lo, 0x3000, v130
	v_add_co_ci_u32_e32 v31, vcc_lo, 0, v131, vcc_lo
	global_store_dwordx4 v[130:131], v[36:39], off
	global_store_dwordx4 v[130:131], v[32:35], off offset:1008
	global_store_dwordx4 v[138:139], v[84:87], off offset:112
	;; [unrolled: 1-line block ×13, first 2 shown]
	s_and_b32 exec_lo, exec_lo, s0
	s_cbranch_execz .LBB0_18
; %bb.17:
	v_add_nc_u32_e32 v32, -9, v128
	v_cndmask_b32_e64 v32, v32, v140, s0
	v_mul_i32_i24_e32 v128, 6, v32
	v_lshlrev_b64 v[32:33], 4, v[128:129]
	v_add_co_u32 v32, vcc_lo, s8, v32
	v_add_co_ci_u32_e32 v33, vcc_lo, s9, v33, vcc_lo
	v_add_co_u32 v52, vcc_lo, 0x840, v32
	v_add_co_ci_u32_e32 v53, vcc_lo, 0, v33, vcc_lo
	;; [unrolled: 2-line block ×4, first 2 shown]
	s_clause 0x5
	global_load_dwordx4 v[32:35], v[44:45], off offset:64
	global_load_dwordx4 v[36:39], v[52:53], off offset:16
	;; [unrolled: 1-line block ×6, first 2 shown]
	s_waitcnt vmcnt(5)
	v_mul_f64 v[56:57], v[14:15], v[34:35]
	v_mul_f64 v[34:35], v[2:3], v[34:35]
	s_waitcnt vmcnt(4)
	v_mul_f64 v[58:59], v[20:21], v[38:39]
	v_mul_f64 v[38:39], v[8:9], v[38:39]
	;; [unrolled: 3-line block ×6, first 2 shown]
	v_fma_f64 v[2:3], v[2:3], v[32:33], v[56:57]
	v_fma_f64 v[14:15], v[14:15], v[32:33], -v[34:35]
	v_fma_f64 v[8:9], v[8:9], v[36:37], v[58:59]
	v_fma_f64 v[20:21], v[20:21], v[36:37], -v[38:39]
	;; [unrolled: 2-line block ×6, first 2 shown]
	v_add_f64 v[36:37], v[2:3], v[32:33]
	v_add_f64 v[38:39], v[14:15], v[34:35]
	;; [unrolled: 1-line block ×4, first 2 shown]
	v_add_f64 v[6:7], v[8:9], -v[6:7]
	v_add_f64 v[8:9], v[20:21], -v[18:19]
	v_add_f64 v[18:19], v[10:11], v[4:5]
	v_add_f64 v[20:21], v[22:23], v[16:17]
	v_add_f64 v[4:5], v[4:5], -v[10:11]
	v_add_f64 v[10:11], v[16:17], -v[22:23]
	;; [unrolled: 1-line block ×4, first 2 shown]
	v_add_f64 v[2:3], v[40:41], v[36:37]
	v_add_f64 v[22:23], v[42:43], v[38:39]
	v_add_f64 v[32:33], v[36:37], -v[18:19]
	v_add_f64 v[34:35], v[38:39], -v[20:21]
	;; [unrolled: 1-line block ×6, first 2 shown]
	v_add_f64 v[6:7], v[4:5], v[6:7]
	v_add_f64 v[8:9], v[10:11], v[8:9]
	v_add_f64 v[4:5], v[16:17], -v[4:5]
	v_add_f64 v[10:11], v[14:15], -v[10:11]
	v_add_f64 v[52:53], v[18:19], v[2:3]
	v_add_f64 v[22:23], v[20:21], v[22:23]
	v_add_f64 v[18:19], v[18:19], -v[40:41]
	v_add_f64 v[20:21], v[20:21], -v[42:43]
	v_mul_f64 v[32:33], v[32:33], s[24:25]
	v_mul_f64 v[34:35], v[34:35], s[24:25]
	v_mul_f64 v[44:45], v[44:45], s[22:23]
	v_mul_f64 v[46:47], v[46:47], s[22:23]
	v_mul_f64 v[54:55], v[48:49], s[18:19]
	v_mul_f64 v[56:57], v[50:51], s[18:19]
	v_add_f64 v[6:7], v[6:7], v[16:17]
	v_add_f64 v[8:9], v[8:9], v[14:15]
	;; [unrolled: 1-line block ×4, first 2 shown]
	v_add_f64 v[12:13], v[40:41], -v[36:37]
	v_add_f64 v[36:37], v[42:43], -v[38:39]
	v_mul_f64 v[38:39], v[18:19], s[20:21]
	v_mul_f64 v[40:41], v[20:21], s[20:21]
	v_fma_f64 v[14:15], v[18:19], s[20:21], v[32:33]
	v_fma_f64 v[16:17], v[20:21], s[20:21], v[34:35]
	;; [unrolled: 1-line block ×4, first 2 shown]
	v_fma_f64 v[42:43], v[48:49], s[18:19], -v[44:45]
	v_fma_f64 v[44:45], v[50:51], s[18:19], -v[46:47]
	;; [unrolled: 1-line block ×4, first 2 shown]
	v_fma_f64 v[46:47], v[52:53], s[6:7], v[0:1]
	v_fma_f64 v[22:23], v[22:23], s[6:7], v[2:3]
	v_fma_f64 v[32:33], v[12:13], s[12:13], -v[32:33]
	v_fma_f64 v[34:35], v[36:37], s[12:13], -v[34:35]
	;; [unrolled: 1-line block ×4, first 2 shown]
	v_fma_f64 v[38:39], v[6:7], s[4:5], v[18:19]
	v_fma_f64 v[40:41], v[8:9], s[4:5], v[20:21]
	;; [unrolled: 1-line block ×6, first 2 shown]
	v_add_f64 v[48:49], v[14:15], v[46:47]
	v_add_f64 v[50:51], v[16:17], v[22:23]
	;; [unrolled: 1-line block ×6, first 2 shown]
	v_add_co_u32 v36, vcc_lo, 0x3800, v130
	v_add_co_ci_u32_e32 v37, vcc_lo, 0, v131, vcc_lo
	v_add_f64 v[4:5], v[40:41], v[48:49]
	v_add_f64 v[6:7], v[50:51], -v[38:39]
	v_add_f64 v[8:9], v[44:45], v[32:33]
	v_add_f64 v[10:11], v[34:35], -v[42:43]
	v_add_f64 v[12:13], v[16:17], -v[20:21]
	v_add_f64 v[14:15], v[18:19], v[22:23]
	v_add_f64 v[16:17], v[20:21], v[16:17]
	v_add_f64 v[18:19], v[22:23], -v[18:19]
	v_add_f64 v[20:21], v[32:33], -v[44:45]
	v_add_f64 v[22:23], v[42:43], v[34:35]
	v_add_f64 v[32:33], v[48:49], -v[40:41]
	v_add_f64 v[34:35], v[38:39], v[50:51]
	global_store_dwordx4 v[130:131], v[0:3], off offset:2016
	global_store_dwordx4 v[136:137], v[4:7], off offset:80
	;; [unrolled: 1-line block ×7, first 2 shown]
.LBB0_18:
	s_endpgm
	.section	.rodata,"a",@progbits
	.p2align	6, 0x0
	.amdhsa_kernel fft_rtc_back_len945_factors_3_3_3_5_7_wgs_63_tpt_63_halfLds_dp_ip_CI_unitstride_sbrr_dirReg
		.amdhsa_group_segment_fixed_size 0
		.amdhsa_private_segment_fixed_size 0
		.amdhsa_kernarg_size 88
		.amdhsa_user_sgpr_count 6
		.amdhsa_user_sgpr_private_segment_buffer 1
		.amdhsa_user_sgpr_dispatch_ptr 0
		.amdhsa_user_sgpr_queue_ptr 0
		.amdhsa_user_sgpr_kernarg_segment_ptr 1
		.amdhsa_user_sgpr_dispatch_id 0
		.amdhsa_user_sgpr_flat_scratch_init 0
		.amdhsa_user_sgpr_private_segment_size 0
		.amdhsa_wavefront_size32 1
		.amdhsa_uses_dynamic_stack 0
		.amdhsa_system_sgpr_private_segment_wavefront_offset 0
		.amdhsa_system_sgpr_workgroup_id_x 1
		.amdhsa_system_sgpr_workgroup_id_y 0
		.amdhsa_system_sgpr_workgroup_id_z 0
		.amdhsa_system_sgpr_workgroup_info 0
		.amdhsa_system_vgpr_workitem_id 0
		.amdhsa_next_free_vgpr 165
		.amdhsa_next_free_sgpr 26
		.amdhsa_reserve_vcc 1
		.amdhsa_reserve_flat_scratch 0
		.amdhsa_float_round_mode_32 0
		.amdhsa_float_round_mode_16_64 0
		.amdhsa_float_denorm_mode_32 3
		.amdhsa_float_denorm_mode_16_64 3
		.amdhsa_dx10_clamp 1
		.amdhsa_ieee_mode 1
		.amdhsa_fp16_overflow 0
		.amdhsa_workgroup_processor_mode 1
		.amdhsa_memory_ordered 1
		.amdhsa_forward_progress 0
		.amdhsa_shared_vgpr_count 0
		.amdhsa_exception_fp_ieee_invalid_op 0
		.amdhsa_exception_fp_denorm_src 0
		.amdhsa_exception_fp_ieee_div_zero 0
		.amdhsa_exception_fp_ieee_overflow 0
		.amdhsa_exception_fp_ieee_underflow 0
		.amdhsa_exception_fp_ieee_inexact 0
		.amdhsa_exception_int_div_zero 0
	.end_amdhsa_kernel
	.text
.Lfunc_end0:
	.size	fft_rtc_back_len945_factors_3_3_3_5_7_wgs_63_tpt_63_halfLds_dp_ip_CI_unitstride_sbrr_dirReg, .Lfunc_end0-fft_rtc_back_len945_factors_3_3_3_5_7_wgs_63_tpt_63_halfLds_dp_ip_CI_unitstride_sbrr_dirReg
                                        ; -- End function
	.section	.AMDGPU.csdata,"",@progbits
; Kernel info:
; codeLenInByte = 11908
; NumSgprs: 28
; NumVgprs: 165
; ScratchSize: 0
; MemoryBound: 1
; FloatMode: 240
; IeeeMode: 1
; LDSByteSize: 0 bytes/workgroup (compile time only)
; SGPRBlocks: 3
; VGPRBlocks: 20
; NumSGPRsForWavesPerEU: 28
; NumVGPRsForWavesPerEU: 165
; Occupancy: 5
; WaveLimiterHint : 1
; COMPUTE_PGM_RSRC2:SCRATCH_EN: 0
; COMPUTE_PGM_RSRC2:USER_SGPR: 6
; COMPUTE_PGM_RSRC2:TRAP_HANDLER: 0
; COMPUTE_PGM_RSRC2:TGID_X_EN: 1
; COMPUTE_PGM_RSRC2:TGID_Y_EN: 0
; COMPUTE_PGM_RSRC2:TGID_Z_EN: 0
; COMPUTE_PGM_RSRC2:TIDIG_COMP_CNT: 0
	.text
	.p2alignl 6, 3214868480
	.fill 48, 4, 3214868480
	.type	__hip_cuid_6f80ac77fb538ce4,@object ; @__hip_cuid_6f80ac77fb538ce4
	.section	.bss,"aw",@nobits
	.globl	__hip_cuid_6f80ac77fb538ce4
__hip_cuid_6f80ac77fb538ce4:
	.byte	0                               ; 0x0
	.size	__hip_cuid_6f80ac77fb538ce4, 1

	.ident	"AMD clang version 19.0.0git (https://github.com/RadeonOpenCompute/llvm-project roc-6.4.0 25133 c7fe45cf4b819c5991fe208aaa96edf142730f1d)"
	.section	".note.GNU-stack","",@progbits
	.addrsig
	.addrsig_sym __hip_cuid_6f80ac77fb538ce4
	.amdgpu_metadata
---
amdhsa.kernels:
  - .args:
      - .actual_access:  read_only
        .address_space:  global
        .offset:         0
        .size:           8
        .value_kind:     global_buffer
      - .offset:         8
        .size:           8
        .value_kind:     by_value
      - .actual_access:  read_only
        .address_space:  global
        .offset:         16
        .size:           8
        .value_kind:     global_buffer
      - .actual_access:  read_only
        .address_space:  global
        .offset:         24
        .size:           8
        .value_kind:     global_buffer
      - .offset:         32
        .size:           8
        .value_kind:     by_value
      - .actual_access:  read_only
        .address_space:  global
        .offset:         40
        .size:           8
        .value_kind:     global_buffer
      - .actual_access:  read_only
        .address_space:  global
        .offset:         48
        .size:           8
        .value_kind:     global_buffer
      - .offset:         56
        .size:           4
        .value_kind:     by_value
      - .actual_access:  read_only
        .address_space:  global
        .offset:         64
        .size:           8
        .value_kind:     global_buffer
      - .actual_access:  read_only
        .address_space:  global
        .offset:         72
        .size:           8
        .value_kind:     global_buffer
      - .address_space:  global
        .offset:         80
        .size:           8
        .value_kind:     global_buffer
    .group_segment_fixed_size: 0
    .kernarg_segment_align: 8
    .kernarg_segment_size: 88
    .language:       OpenCL C
    .language_version:
      - 2
      - 0
    .max_flat_workgroup_size: 63
    .name:           fft_rtc_back_len945_factors_3_3_3_5_7_wgs_63_tpt_63_halfLds_dp_ip_CI_unitstride_sbrr_dirReg
    .private_segment_fixed_size: 0
    .sgpr_count:     28
    .sgpr_spill_count: 0
    .symbol:         fft_rtc_back_len945_factors_3_3_3_5_7_wgs_63_tpt_63_halfLds_dp_ip_CI_unitstride_sbrr_dirReg.kd
    .uniform_work_group_size: 1
    .uses_dynamic_stack: false
    .vgpr_count:     165
    .vgpr_spill_count: 0
    .wavefront_size: 32
    .workgroup_processor_mode: 1
amdhsa.target:   amdgcn-amd-amdhsa--gfx1030
amdhsa.version:
  - 1
  - 2
...

	.end_amdgpu_metadata
